;; amdgpu-corpus repo=ROCm/rocFFT kind=compiled arch=gfx1030 opt=O3
	.text
	.amdgcn_target "amdgcn-amd-amdhsa--gfx1030"
	.amdhsa_code_object_version 6
	.protected	fft_rtc_back_len99_factors_3_3_11_wgs_220_tpt_11_sp_ip_CI_unitstride_sbrr_dirReg ; -- Begin function fft_rtc_back_len99_factors_3_3_11_wgs_220_tpt_11_sp_ip_CI_unitstride_sbrr_dirReg
	.globl	fft_rtc_back_len99_factors_3_3_11_wgs_220_tpt_11_sp_ip_CI_unitstride_sbrr_dirReg
	.p2align	8
	.type	fft_rtc_back_len99_factors_3_3_11_wgs_220_tpt_11_sp_ip_CI_unitstride_sbrr_dirReg,@function
fft_rtc_back_len99_factors_3_3_11_wgs_220_tpt_11_sp_ip_CI_unitstride_sbrr_dirReg: ; @fft_rtc_back_len99_factors_3_3_11_wgs_220_tpt_11_sp_ip_CI_unitstride_sbrr_dirReg
; %bb.0:
	s_load_dwordx4 s[8:11], s[4:5], 0x0
	v_mul_u32_u24_e32 v1, 0x1746, v0
	s_clause 0x1
	s_load_dwordx2 s[2:3], s[4:5], 0x50
	s_load_dwordx2 s[12:13], s[4:5], 0x18
	v_mov_b32_e32 v3, 0
	v_mov_b32_e32 v5, 0
	;; [unrolled: 1-line block ×3, first 2 shown]
	v_lshrrev_b32_e32 v1, 16, v1
	v_mad_u64_u32 v[1:2], null, s6, 20, v[1:2]
	v_mov_b32_e32 v2, v3
	v_mov_b32_e32 v10, v2
	;; [unrolled: 1-line block ×3, first 2 shown]
	s_waitcnt lgkmcnt(0)
	v_cmp_lt_u64_e64 s0, s[10:11], 2
	s_and_b32 vcc_lo, exec_lo, s0
	s_cbranch_vccnz .LBB0_8
; %bb.1:
	s_load_dwordx2 s[0:1], s[4:5], 0x10
	v_mov_b32_e32 v5, 0
	v_mov_b32_e32 v8, v2
	s_add_u32 s6, s12, 8
	v_mov_b32_e32 v6, 0
	v_mov_b32_e32 v7, v1
	s_addc_u32 s7, s13, 0
	s_mov_b64 s[16:17], 1
	s_waitcnt lgkmcnt(0)
	s_add_u32 s14, s0, 8
	s_addc_u32 s15, s1, 0
.LBB0_2:                                ; =>This Inner Loop Header: Depth=1
	s_load_dwordx2 s[18:19], s[14:15], 0x0
                                        ; implicit-def: $vgpr9_vgpr10
	s_mov_b32 s0, exec_lo
	s_waitcnt lgkmcnt(0)
	v_or_b32_e32 v4, s19, v8
	v_cmpx_ne_u64_e32 0, v[3:4]
	s_xor_b32 s1, exec_lo, s0
	s_cbranch_execz .LBB0_4
; %bb.3:                                ;   in Loop: Header=BB0_2 Depth=1
	v_cvt_f32_u32_e32 v2, s18
	v_cvt_f32_u32_e32 v4, s19
	s_sub_u32 s0, 0, s18
	s_subb_u32 s20, 0, s19
	v_fmac_f32_e32 v2, 0x4f800000, v4
	v_rcp_f32_e32 v2, v2
	v_mul_f32_e32 v2, 0x5f7ffffc, v2
	v_mul_f32_e32 v4, 0x2f800000, v2
	v_trunc_f32_e32 v4, v4
	v_fmac_f32_e32 v2, 0xcf800000, v4
	v_cvt_u32_f32_e32 v4, v4
	v_cvt_u32_f32_e32 v2, v2
	v_mul_lo_u32 v9, s0, v4
	v_mul_hi_u32 v10, s0, v2
	v_mul_lo_u32 v11, s20, v2
	v_add_nc_u32_e32 v9, v10, v9
	v_mul_lo_u32 v10, s0, v2
	v_add_nc_u32_e32 v9, v9, v11
	v_mul_hi_u32 v11, v2, v10
	v_mul_lo_u32 v12, v2, v9
	v_mul_hi_u32 v13, v2, v9
	v_mul_hi_u32 v14, v4, v10
	v_mul_lo_u32 v10, v4, v10
	v_mul_hi_u32 v15, v4, v9
	v_mul_lo_u32 v9, v4, v9
	v_add_co_u32 v11, vcc_lo, v11, v12
	v_add_co_ci_u32_e32 v12, vcc_lo, 0, v13, vcc_lo
	v_add_co_u32 v10, vcc_lo, v11, v10
	v_add_co_ci_u32_e32 v10, vcc_lo, v12, v14, vcc_lo
	v_add_co_ci_u32_e32 v11, vcc_lo, 0, v15, vcc_lo
	v_add_co_u32 v9, vcc_lo, v10, v9
	v_add_co_ci_u32_e32 v10, vcc_lo, 0, v11, vcc_lo
	v_add_co_u32 v2, vcc_lo, v2, v9
	v_add_co_ci_u32_e32 v4, vcc_lo, v4, v10, vcc_lo
	v_mul_hi_u32 v9, s0, v2
	v_mul_lo_u32 v11, s20, v2
	v_mul_lo_u32 v10, s0, v4
	v_add_nc_u32_e32 v9, v9, v10
	v_mul_lo_u32 v10, s0, v2
	v_add_nc_u32_e32 v9, v9, v11
	v_mul_hi_u32 v11, v2, v10
	v_mul_lo_u32 v12, v2, v9
	v_mul_hi_u32 v13, v2, v9
	v_mul_hi_u32 v14, v4, v10
	v_mul_lo_u32 v10, v4, v10
	v_mul_hi_u32 v15, v4, v9
	v_mul_lo_u32 v9, v4, v9
	v_add_co_u32 v11, vcc_lo, v11, v12
	v_add_co_ci_u32_e32 v12, vcc_lo, 0, v13, vcc_lo
	v_add_co_u32 v10, vcc_lo, v11, v10
	v_add_co_ci_u32_e32 v10, vcc_lo, v12, v14, vcc_lo
	v_add_co_ci_u32_e32 v11, vcc_lo, 0, v15, vcc_lo
	v_add_co_u32 v9, vcc_lo, v10, v9
	v_add_co_ci_u32_e32 v10, vcc_lo, 0, v11, vcc_lo
	v_add_co_u32 v2, vcc_lo, v2, v9
	v_add_co_ci_u32_e32 v4, vcc_lo, v4, v10, vcc_lo
	v_mul_hi_u32 v15, v7, v2
	v_mad_u64_u32 v[11:12], null, v8, v2, 0
	v_mad_u64_u32 v[9:10], null, v7, v4, 0
	v_mad_u64_u32 v[13:14], null, v8, v4, 0
	v_add_co_u32 v2, vcc_lo, v15, v9
	v_add_co_ci_u32_e32 v4, vcc_lo, 0, v10, vcc_lo
	v_add_co_u32 v2, vcc_lo, v2, v11
	v_add_co_ci_u32_e32 v2, vcc_lo, v4, v12, vcc_lo
	v_add_co_ci_u32_e32 v4, vcc_lo, 0, v14, vcc_lo
	v_add_co_u32 v2, vcc_lo, v2, v13
	v_add_co_ci_u32_e32 v4, vcc_lo, 0, v4, vcc_lo
	v_mul_lo_u32 v11, s19, v2
	v_mad_u64_u32 v[9:10], null, s18, v2, 0
	v_mul_lo_u32 v12, s18, v4
	v_sub_co_u32 v9, vcc_lo, v7, v9
	v_add3_u32 v10, v10, v12, v11
	v_sub_nc_u32_e32 v11, v8, v10
	v_subrev_co_ci_u32_e64 v11, s0, s19, v11, vcc_lo
	v_add_co_u32 v12, s0, v2, 2
	v_add_co_ci_u32_e64 v13, s0, 0, v4, s0
	v_sub_co_u32 v14, s0, v9, s18
	v_sub_co_ci_u32_e32 v10, vcc_lo, v8, v10, vcc_lo
	v_subrev_co_ci_u32_e64 v11, s0, 0, v11, s0
	v_cmp_le_u32_e32 vcc_lo, s18, v14
	v_cmp_eq_u32_e64 s0, s19, v10
	v_cndmask_b32_e64 v14, 0, -1, vcc_lo
	v_cmp_le_u32_e32 vcc_lo, s19, v11
	v_cndmask_b32_e64 v15, 0, -1, vcc_lo
	v_cmp_le_u32_e32 vcc_lo, s18, v9
	;; [unrolled: 2-line block ×3, first 2 shown]
	v_cndmask_b32_e64 v16, 0, -1, vcc_lo
	v_cmp_eq_u32_e32 vcc_lo, s19, v11
	v_cndmask_b32_e64 v9, v16, v9, s0
	v_cndmask_b32_e32 v11, v15, v14, vcc_lo
	v_add_co_u32 v14, vcc_lo, v2, 1
	v_add_co_ci_u32_e32 v15, vcc_lo, 0, v4, vcc_lo
	v_cmp_ne_u32_e32 vcc_lo, 0, v11
	v_cndmask_b32_e32 v10, v15, v13, vcc_lo
	v_cndmask_b32_e32 v11, v14, v12, vcc_lo
	v_cmp_ne_u32_e32 vcc_lo, 0, v9
	v_cndmask_b32_e32 v10, v4, v10, vcc_lo
	v_cndmask_b32_e32 v9, v2, v11, vcc_lo
.LBB0_4:                                ;   in Loop: Header=BB0_2 Depth=1
	s_andn2_saveexec_b32 s0, s1
	s_cbranch_execz .LBB0_6
; %bb.5:                                ;   in Loop: Header=BB0_2 Depth=1
	v_cvt_f32_u32_e32 v2, s18
	s_sub_i32 s1, 0, s18
	v_rcp_iflag_f32_e32 v2, v2
	v_mul_f32_e32 v2, 0x4f7ffffe, v2
	v_cvt_u32_f32_e32 v2, v2
	v_mul_lo_u32 v4, s1, v2
	v_mul_hi_u32 v4, v2, v4
	v_add_nc_u32_e32 v2, v2, v4
	v_mul_hi_u32 v2, v7, v2
	v_mul_lo_u32 v4, v2, s18
	v_add_nc_u32_e32 v9, 1, v2
	v_sub_nc_u32_e32 v4, v7, v4
	v_subrev_nc_u32_e32 v10, s18, v4
	v_cmp_le_u32_e32 vcc_lo, s18, v4
	v_cndmask_b32_e32 v4, v4, v10, vcc_lo
	v_cndmask_b32_e32 v2, v2, v9, vcc_lo
	v_mov_b32_e32 v10, v3
	v_cmp_le_u32_e32 vcc_lo, s18, v4
	v_add_nc_u32_e32 v9, 1, v2
	v_cndmask_b32_e32 v9, v2, v9, vcc_lo
.LBB0_6:                                ;   in Loop: Header=BB0_2 Depth=1
	s_or_b32 exec_lo, exec_lo, s0
	s_load_dwordx2 s[0:1], s[6:7], 0x0
	v_mul_lo_u32 v2, v10, s18
	v_mul_lo_u32 v4, v9, s19
	v_mad_u64_u32 v[11:12], null, v9, s18, 0
	s_add_u32 s16, s16, 1
	s_addc_u32 s17, s17, 0
	s_add_u32 s6, s6, 8
	s_addc_u32 s7, s7, 0
	;; [unrolled: 2-line block ×3, first 2 shown]
	v_add3_u32 v2, v12, v4, v2
	v_sub_co_u32 v4, vcc_lo, v7, v11
	v_sub_co_ci_u32_e32 v2, vcc_lo, v8, v2, vcc_lo
	s_waitcnt lgkmcnt(0)
	v_mul_lo_u32 v7, s1, v4
	v_mul_lo_u32 v2, s0, v2
	v_mad_u64_u32 v[5:6], null, s0, v4, v[5:6]
	v_cmp_ge_u64_e64 s0, s[16:17], s[10:11]
	s_and_b32 vcc_lo, exec_lo, s0
	v_add3_u32 v6, v7, v6, v2
	s_cbranch_vccnz .LBB0_8
; %bb.7:                                ;   in Loop: Header=BB0_2 Depth=1
	v_mov_b32_e32 v7, v9
	v_mov_b32_e32 v8, v10
	s_branch .LBB0_2
.LBB0_8:
	s_lshl_b64 s[0:1], s[10:11], 3
                                        ; implicit-def: $vgpr19
                                        ; implicit-def: $vgpr17
                                        ; implicit-def: $vgpr13
                                        ; implicit-def: $vgpr15
                                        ; implicit-def: $vgpr11
	s_add_u32 s0, s12, s0
	s_addc_u32 s1, s13, s1
	s_load_dwordx2 s[0:1], s[0:1], 0x0
	s_load_dwordx2 s[4:5], s[4:5], 0x20
	s_waitcnt lgkmcnt(0)
	v_mul_lo_u32 v4, s0, v10
	v_mul_lo_u32 v7, s1, v9
	v_mad_u64_u32 v[2:3], null, s0, v9, v[5:6]
	v_mul_hi_u32 v5, 0x1745d175, v0
	v_cmp_gt_u64_e32 vcc_lo, s[4:5], v[9:10]
                                        ; implicit-def: $vgpr9
	v_add3_u32 v3, v7, v3, v4
                                        ; implicit-def: $vgpr7
	v_mul_u32_u24_e32 v4, 11, v5
                                        ; implicit-def: $vgpr5
	v_lshlrev_b64 v[22:23], 3, v[2:3]
                                        ; implicit-def: $vgpr3
	v_sub_nc_u32_e32 v24, v0, v4
	s_and_saveexec_b32 s1, vcc_lo
; %bb.9:
	v_mov_b32_e32 v25, 0
	v_add_co_u32 v0, s0, s2, v22
	v_add_co_ci_u32_e64 v4, s0, s3, v23, s0
	v_lshlrev_b64 v[2:3], 3, v[24:25]
	v_add_co_u32 v8, s0, v0, v2
	v_add_co_ci_u32_e64 v9, s0, v4, v3, s0
	s_clause 0x8
	global_load_dwordx2 v[2:3], v[8:9], off
	global_load_dwordx2 v[4:5], v[8:9], off offset:88
	global_load_dwordx2 v[12:13], v[8:9], off offset:352
	;; [unrolled: 1-line block ×8, first 2 shown]
; %bb.10:
	s_or_b32 exec_lo, exec_lo, s1
	v_mul_hi_u32 v0, 0xcccccccd, v1
	s_waitcnt vmcnt(5)
	v_sub_f32_e32 v29, v13, v15
	v_add_f32_e32 v30, v5, v13
	v_add_f32_e32 v31, v13, v15
	s_waitcnt vmcnt(2)
	v_add_f32_e32 v21, v18, v16
	v_add_f32_e32 v20, v2, v18
	;; [unrolled: 1-line block ×3, first 2 shown]
	v_sub_f32_e32 v27, v18, v16
	v_lshrrev_b32_e32 v0, 4, v0
	v_add_f32_e32 v18, v4, v12
	v_add_f32_e32 v28, v12, v14
	v_fmac_f32_e32 v5, -0.5, v31
	v_sub_f32_e32 v12, v12, v14
	v_mul_lo_u32 v13, v0, 20
	v_fmac_f32_e32 v2, -0.5, v21
	v_sub_f32_e32 v25, v19, v17
	v_add_f32_e32 v19, v19, v17
	v_add_f32_e32 v16, v20, v16
	;; [unrolled: 1-line block ×4, first 2 shown]
	s_waitcnt vmcnt(0)
	v_add_f32_e32 v20, v8, v10
	v_sub_nc_u32_e32 v1, v1, v13
	v_sub_f32_e32 v26, v11, v9
	v_fmamk_f32 v14, v12, 0x3f5db3d7, v5
	v_fmac_f32_e32 v5, 0xbf5db3d7, v12
	v_add_f32_e32 v12, v9, v11
	v_mul_u32_u24_e32 v21, 0x63, v1
	v_add_f32_e32 v1, v30, v15
	v_add_f32_e32 v15, v10, v6
	v_add_f32_e32 v11, v11, v7
	v_fmac_f32_e32 v6, -0.5, v20
	v_lshlrev_b32_e32 v37, 3, v21
	v_fmac_f32_e32 v3, -0.5, v19
	v_add_f32_e32 v20, v8, v15
	v_sub_f32_e32 v8, v10, v8
	v_and_b32_e32 v10, 0xff, v24
	v_add_f32_e32 v21, v9, v11
	v_add_nc_u16 v9, v24, 11
	v_fmac_f32_e32 v7, -0.5, v12
	v_add_nc_u32_e32 v38, 0, v37
	v_add_nc_u16 v11, v24, 22
	v_fmac_f32_e32 v4, -0.5, v28
	v_mul_lo_u16 v10, 0xab, v10
	v_and_b32_e32 v12, 0xff, v9
	v_fmamk_f32 v18, v25, 0xbf5db3d7, v2
	v_fmac_f32_e32 v2, 0x3f5db3d7, v25
	v_fmamk_f32 v19, v27, 0x3f5db3d7, v3
	v_fmac_f32_e32 v3, 0xbf5db3d7, v27
	;; [unrolled: 2-line block ×3, first 2 shown]
	v_fmamk_f32 v26, v8, 0x3f5db3d7, v7
	v_mad_u32_u24 v27, v24, 24, v38
	v_fmac_f32_e32 v7, 0xbf5db3d7, v8
	v_and_b32_e32 v8, 0xff, v11
	v_fmamk_f32 v13, v29, 0xbf5db3d7, v4
	v_lshrrev_b16 v28, 9, v10
	v_mul_lo_u16 v10, 0xab, v12
	ds_write2_b64 v27, v[16:17], v[18:19] offset1:1
	ds_write2_b64 v27, v[0:1], v[13:14] offset0:33 offset1:34
	v_mul_lo_u16 v1, 0xab, v8
	v_fmac_f32_e32 v4, 0x3f5db3d7, v29
	v_lshrrev_b16 v17, 9, v10
	v_mul_lo_u16 v0, v28, 3
	ds_write2_b64 v27, v[2:3], v[4:5] offset0:2 offset1:35
	ds_write2_b64 v27, v[20:21], v[25:26] offset0:66 offset1:67
	v_lshrrev_b16 v1, 9, v1
	v_mul_lo_u16 v2, v17, 3
	v_sub_nc_u16 v0, v24, v0
	v_mov_b32_e32 v3, 4
	ds_write_b64 v27, v[6:7] offset:544
	v_mul_lo_u16 v4, v1, 3
	v_sub_nc_u16 v2, v9, v2
	s_waitcnt lgkmcnt(0)
	v_lshlrev_b32_sdwa v5, v3, v0 dst_sel:DWORD dst_unused:UNUSED_PAD src0_sel:DWORD src1_sel:BYTE_0
	s_barrier
	v_sub_nc_u16 v4, v11, v4
	v_lshlrev_b32_sdwa v6, v3, v2 dst_sel:DWORD dst_unused:UNUSED_PAD src0_sel:DWORD src1_sel:BYTE_0
	buffer_gl0_inv
	global_load_dwordx4 v[8:11], v5, s[8:9]
	v_and_b32_e32 v5, 0xffff, v28
	v_lshlrev_b32_sdwa v3, v3, v4 dst_sel:DWORD dst_unused:UNUSED_PAD src0_sel:DWORD src1_sel:BYTE_0
	s_clause 0x1
	global_load_dwordx4 v[12:15], v6, s[8:9]
	global_load_dwordx4 v[18:21], v3, s[8:9]
	v_lshlrev_b32_e32 v3, 4, v24
	v_and_b32_e32 v6, 0xffff, v17
	v_and_b32_e32 v1, 0xffff, v1
	v_mad_u32_u24 v5, 0x48, v5, 0
	v_lshl_add_u32 v17, v24, 3, v38
	v_sub_nc_u32_e32 v16, v27, v3
	v_mov_b32_e32 v3, 3
	v_mad_u32_u24 v6, 0x48, v6, 0
	v_mad_u32_u24 v1, 0x48, v1, 0
	v_cmp_gt_u32_e64 s0, 9, v24
	ds_read2_b64 v[25:28], v16 offset0:33 offset1:44
	ds_read2_b64 v[29:32], v16 offset0:55 offset1:66
	;; [unrolled: 1-line block ×3, first 2 shown]
	v_lshlrev_b32_sdwa v0, v3, v0 dst_sel:DWORD dst_unused:UNUSED_PAD src0_sel:DWORD src1_sel:BYTE_0
	v_lshlrev_b32_sdwa v2, v3, v2 dst_sel:DWORD dst_unused:UNUSED_PAD src0_sel:DWORD src1_sel:BYTE_0
	;; [unrolled: 1-line block ×3, first 2 shown]
	v_add3_u32 v38, v5, v0, v37
	v_add3_u32 v39, v6, v2, v37
	v_add3_u32 v37, v1, v3, v37
	ds_read_b64 v[2:3], v17
	ds_read2_b64 v[4:7], v16 offset0:11 offset1:22
	s_waitcnt vmcnt(0) lgkmcnt(0)
	s_barrier
	buffer_gl0_inv
	v_mul_f32_e32 v0, v9, v26
	v_mul_f32_e32 v1, v9, v25
	;; [unrolled: 1-line block ×12, first 2 shown]
	v_fmac_f32_e32 v0, v8, v25
	v_fma_f32 v1, v8, v26, -v1
	v_fmac_f32_e32 v9, v10, v31
	v_fma_f32 v8, v10, v32, -v11
	;; [unrolled: 2-line block ×6, first 2 shown]
	v_add_f32_e32 v13, v2, v0
	v_add_f32_e32 v14, v0, v9
	v_sub_f32_e32 v18, v1, v8
	v_add_f32_e32 v19, v3, v1
	v_add_f32_e32 v1, v1, v8
	;; [unrolled: 1-line block ×3, first 2 shown]
	v_sub_f32_e32 v27, v10, v11
	v_add_f32_e32 v28, v5, v10
	v_add_f32_e32 v10, v10, v11
	;; [unrolled: 1-line block ×4, first 2 shown]
	v_sub_f32_e32 v25, v0, v9
	v_add_f32_e32 v0, v4, v40
	v_sub_f32_e32 v29, v40, v41
	v_add_f32_e32 v30, v6, v42
	;; [unrolled: 2-line block ×4, first 2 shown]
	v_fma_f32 v2, -0.5, v14, v2
	v_fmac_f32_e32 v3, -0.5, v1
	v_fma_f32 v12, -0.5, v26, v4
	v_fma_f32 v13, -0.5, v10, v5
	;; [unrolled: 1-line block ×3, first 2 shown]
	v_fmac_f32_e32 v7, -0.5, v34
	v_add_f32_e32 v21, v19, v8
	v_add_f32_e32 v8, v0, v41
	;; [unrolled: 1-line block ×5, first 2 shown]
	v_fmamk_f32 v0, v18, 0xbf5db3d7, v2
	v_fmac_f32_e32 v2, 0x3f5db3d7, v18
	v_fmamk_f32 v1, v25, 0x3f5db3d7, v3
	v_fmac_f32_e32 v3, 0xbf5db3d7, v25
	;; [unrolled: 2-line block ×6, first 2 shown]
	ds_write2_b64 v38, v[20:21], v[0:1] offset1:3
	ds_write_b64 v38, v[2:3] offset:48
	ds_write2_b64 v39, v[8:9], v[10:11] offset1:3
	ds_write_b64 v39, v[12:13] offset:48
	;; [unrolled: 2-line block ×3, first 2 shown]
	s_waitcnt lgkmcnt(0)
	s_barrier
	buffer_gl0_inv
                                        ; implicit-def: $vgpr19
	s_and_saveexec_b32 s1, s0
	s_cbranch_execnz .LBB0_13
; %bb.11:
	s_or_b32 exec_lo, exec_lo, s1
	s_and_b32 s0, vcc_lo, s0
	s_and_saveexec_b32 s1, s0
	s_cbranch_execnz .LBB0_14
.LBB0_12:
	s_endpgm
.LBB0_13:
	ds_read_b64 v[20:21], v17
	ds_read2_b64 v[0:3], v16 offset0:9 offset1:18
	ds_read2_b64 v[8:11], v16 offset0:27 offset1:36
	;; [unrolled: 1-line block ×5, first 2 shown]
	s_or_b32 exec_lo, exec_lo, s1
	s_and_b32 s0, vcc_lo, s0
	s_and_saveexec_b32 s1, s0
	s_cbranch_execz .LBB0_12
.LBB0_14:
	v_mul_u32_u24_e32 v25, 10, v24
	v_add_co_u32 v22, vcc_lo, s2, v22
	v_add_co_ci_u32_e32 v23, vcc_lo, s3, v23, vcc_lo
	v_lshlrev_b32_e32 v25, 3, v25
	s_clause 0x4
	global_load_dwordx4 v[31:34], v25, s[8:9] offset:112
	global_load_dwordx4 v[35:38], v25, s[8:9] offset:48
	;; [unrolled: 1-line block ×5, first 2 shown]
	v_mov_b32_e32 v25, 0
	v_lshlrev_b64 v[24:25], 3, v[24:25]
	v_add_co_u32 v22, vcc_lo, v22, v24
	v_add_co_ci_u32_e32 v23, vcc_lo, v23, v25, vcc_lo
	s_waitcnt vmcnt(4) lgkmcnt(0)
	v_mul_f32_e32 v51, v18, v34
	s_waitcnt vmcnt(3)
	v_mul_f32_e32 v52, v0, v36
	v_mul_f32_e32 v36, v1, v36
	;; [unrolled: 1-line block ×7, first 2 shown]
	s_waitcnt vmcnt(2)
	v_mul_f32_e32 v32, v6, v42
	s_waitcnt vmcnt(1)
	v_mul_f32_e32 v54, v8, v44
	v_mul_f32_e32 v44, v9, v44
	;; [unrolled: 1-line block ×7, first 2 shown]
	s_waitcnt vmcnt(0)
	v_mul_f32_e32 v40, v14, v50
	v_mul_f32_e32 v46, v12, v48
	;; [unrolled: 1-line block ×3, first 2 shown]
	v_fma_f32 v48, v1, v35, -v52
	v_fmac_f32_e32 v36, v0, v35
	v_fma_f32 v0, v19, v33, -v51
	v_mul_f32_e32 v28, v15, v50
	v_fma_f32 v35, v3, v37, -v53
	v_fmac_f32_e32 v38, v2, v37
	v_fmac_f32_e32 v24, v18, v33
	v_fma_f32 v1, v17, v31, -v34
	v_fmac_f32_e32 v25, v16, v31
	v_fma_f32 v2, v7, v41, -v32
	v_fma_f32 v7, v9, v43, -v54
	v_fmac_f32_e32 v44, v8, v43
	v_fmac_f32_e32 v26, v6, v41
	v_fma_f32 v3, v5, v39, -v42
	v_fma_f32 v6, v11, v45, -v55
	v_fmac_f32_e32 v27, v4, v39
	v_fma_f32 v4, v15, v49, -v40
	v_fma_f32 v5, v13, v47, -v46
	v_add_f32_e32 v8, v0, v48
	v_sub_f32_e32 v15, v48, v0
	v_add_f32_e32 v16, v21, v48
	v_add_f32_e32 v17, v20, v36
	v_fmac_f32_e32 v30, v10, v45
	v_fmac_f32_e32 v29, v12, v47
	;; [unrolled: 1-line block ×3, first 2 shown]
	v_sub_f32_e32 v9, v36, v24
	v_add_f32_e32 v10, v1, v35
	v_add_f32_e32 v12, v2, v7
	;; [unrolled: 1-line block ×5, first 2 shown]
	v_sub_f32_e32 v33, v35, v1
	v_sub_f32_e32 v36, v7, v2
	;; [unrolled: 1-line block ×4, first 2 shown]
	v_mul_f32_e32 v43, 0xbf75a155, v8
	v_mul_f32_e32 v47, 0xbe903f40, v15
	;; [unrolled: 1-line block ×9, first 2 shown]
	v_add_f32_e32 v16, v16, v35
	v_add_f32_e32 v17, v17, v38
	v_sub_f32_e32 v11, v38, v25
	v_sub_f32_e32 v13, v44, v26
	;; [unrolled: 1-line block ×4, first 2 shown]
	v_add_f32_e32 v34, v25, v38
	v_add_f32_e32 v37, v26, v44
	;; [unrolled: 1-line block ×4, first 2 shown]
	v_mul_f32_e32 v45, 0x3f575c64, v10
	v_mul_f32_e32 v46, 0xbf27a4f4, v12
	v_mul_f32_e32 v49, 0xbe11bafb, v10
	v_mul_f32_e32 v50, 0x3f575c64, v12
	v_mul_f32_e32 v53, 0xbf75a155, v10
	v_mul_f32_e32 v54, 0x3ed4b147, v12
	v_mul_f32_e32 v57, 0xbf27a4f4, v10
	v_mul_f32_e32 v58, 0xbf75a155, v12
	v_mul_f32_e32 v10, 0x3ed4b147, v10
	v_mul_f32_e32 v12, 0xbe11bafb, v12
	v_mul_f32_e32 v15, 0xbf0a6770, v15
	v_mul_f32_e32 v60, 0x3ed4b147, v18
	v_mul_f32_e32 v61, 0xbf75a155, v18
	v_mul_f32_e32 v62, 0x3f575c64, v18
	v_mul_f32_e32 v63, 0xbe11bafb, v18
	v_mul_f32_e32 v18, 0xbf27a4f4, v18
	v_mul_f32_e32 v64, 0xbe11bafb, v31
	v_mul_f32_e32 v65, 0x3ed4b147, v31
	v_mul_f32_e32 v66, 0xbf27a4f4, v31
	v_mul_f32_e32 v67, 0x3f575c64, v31
	v_mul_f32_e32 v31, 0xbf75a155, v31
	v_mul_f32_e32 v35, 0x3f0a6770, v33
	v_mul_f32_e32 v38, 0x3f7d64f0, v33
	v_mul_f32_e32 v68, 0x3e903f40, v33
	v_mul_f32_e32 v69, 0xbf4178ce, v33
	v_mul_f32_e32 v33, 0xbf68dda4, v33
	v_mul_f32_e32 v70, 0xbf4178ce, v36
	v_mul_f32_e32 v71, 0xbf0a6770, v36
	v_mul_f32_e32 v72, 0x3f68dda4, v36
	v_mul_f32_e32 v73, 0x3e903f40, v36
	v_mul_f32_e32 v36, 0xbf7d64f0, v36
	v_mul_f32_e32 v74, 0x3f68dda4, v39
	v_mul_f32_e32 v75, 0xbe903f40, v39
	v_mul_f32_e32 v76, 0xbf0a6770, v39
	v_mul_f32_e32 v77, 0x3f7d64f0, v39
	v_mul_f32_e32 v39, 0xbf4178ce, v39
	v_mul_f32_e32 v78, 0xbf7d64f0, v41
	v_mul_f32_e32 v79, 0x3f68dda4, v41
	v_mul_f32_e32 v80, 0xbf4178ce, v41
	v_mul_f32_e32 v81, 0x3f0a6770, v41
	v_mul_f32_e32 v41, 0xbe903f40, v41
	v_fmamk_f32 v82, v9, 0x3e903f40, v43
	v_fmamk_f32 v85, v14, 0xbf75a155, v47
	;; [unrolled: 1-line block ×9, first 2 shown]
	v_add_f32_e32 v7, v16, v7
	v_add_f32_e32 v16, v17, v44
	v_fmamk_f32 v83, v11, 0xbf0a6770, v45
	v_fmamk_f32 v84, v13, 0x3f4178ce, v46
	;; [unrolled: 1-line block ×3, first 2 shown]
	v_fmac_f32_e32 v43, 0xbe903f40, v9
	v_fmac_f32_e32 v48, 0xbf4178ce, v9
	;; [unrolled: 1-line block ×5, first 2 shown]
	v_fmamk_f32 v9, v14, 0x3f575c64, v15
	v_fma_f32 v47, 0xbf75a155, v14, -v47
	v_fma_f32 v51, 0xbf27a4f4, v14, -v51
	;; [unrolled: 1-line block ×5, first 2 shown]
	v_fmamk_f32 v15, v11, 0xbe903f40, v53
	v_fmamk_f32 v94, v11, 0x3f4178ce, v57
	;; [unrolled: 1-line block ×3, first 2 shown]
	v_fmac_f32_e32 v45, 0x3f0a6770, v11
	v_fmac_f32_e32 v49, 0x3f7d64f0, v11
	;; [unrolled: 1-line block ×5, first 2 shown]
	v_fmamk_f32 v11, v13, 0x3f0a6770, v50
	v_fmac_f32_e32 v46, 0xbf4178ce, v13
	v_fmac_f32_e32 v50, 0xbf0a6770, v13
	v_fmamk_f32 v96, v13, 0xbf68dda4, v54
	v_fmac_f32_e32 v54, 0x3f68dda4, v13
	v_fmamk_f32 v97, v13, 0xbe903f40, v58
	;; [unrolled: 2-line block ×14, first 2 shown]
	v_fma_f32 v35, 0x3f575c64, v34, -v35
	v_fmamk_f32 v107, v34, 0xbe11bafb, v38
	v_fma_f32 v38, 0xbe11bafb, v34, -v38
	v_fmamk_f32 v108, v34, 0xbf75a155, v68
	;; [unrolled: 2-line block ×19, first 2 shown]
	v_fma_f32 v41, 0xbf75a155, v42, -v41
	v_add_f32_e32 v42, v21, v82
	v_add_f32_e32 v82, v20, v85
	;; [unrolled: 1-line block ×114, first 2 shown]
	global_store_dwordx2 v[22:23], v[11:12], off offset:72
	global_store_dwordx2 v[22:23], v[9:10], off offset:144
	;; [unrolled: 1-line block ×9, first 2 shown]
	global_store_dwordx2 v[22:23], v[0:1], off
	global_store_dwordx2 v[22:23], v[26:27], off offset:720
	s_endpgm
	.section	.rodata,"a",@progbits
	.p2align	6, 0x0
	.amdhsa_kernel fft_rtc_back_len99_factors_3_3_11_wgs_220_tpt_11_sp_ip_CI_unitstride_sbrr_dirReg
		.amdhsa_group_segment_fixed_size 0
		.amdhsa_private_segment_fixed_size 0
		.amdhsa_kernarg_size 88
		.amdhsa_user_sgpr_count 6
		.amdhsa_user_sgpr_private_segment_buffer 1
		.amdhsa_user_sgpr_dispatch_ptr 0
		.amdhsa_user_sgpr_queue_ptr 0
		.amdhsa_user_sgpr_kernarg_segment_ptr 1
		.amdhsa_user_sgpr_dispatch_id 0
		.amdhsa_user_sgpr_flat_scratch_init 0
		.amdhsa_user_sgpr_private_segment_size 0
		.amdhsa_wavefront_size32 1
		.amdhsa_uses_dynamic_stack 0
		.amdhsa_system_sgpr_private_segment_wavefront_offset 0
		.amdhsa_system_sgpr_workgroup_id_x 1
		.amdhsa_system_sgpr_workgroup_id_y 0
		.amdhsa_system_sgpr_workgroup_id_z 0
		.amdhsa_system_sgpr_workgroup_info 0
		.amdhsa_system_vgpr_workitem_id 0
		.amdhsa_next_free_vgpr 121
		.amdhsa_next_free_sgpr 21
		.amdhsa_reserve_vcc 1
		.amdhsa_reserve_flat_scratch 0
		.amdhsa_float_round_mode_32 0
		.amdhsa_float_round_mode_16_64 0
		.amdhsa_float_denorm_mode_32 3
		.amdhsa_float_denorm_mode_16_64 3
		.amdhsa_dx10_clamp 1
		.amdhsa_ieee_mode 1
		.amdhsa_fp16_overflow 0
		.amdhsa_workgroup_processor_mode 1
		.amdhsa_memory_ordered 1
		.amdhsa_forward_progress 0
		.amdhsa_shared_vgpr_count 0
		.amdhsa_exception_fp_ieee_invalid_op 0
		.amdhsa_exception_fp_denorm_src 0
		.amdhsa_exception_fp_ieee_div_zero 0
		.amdhsa_exception_fp_ieee_overflow 0
		.amdhsa_exception_fp_ieee_underflow 0
		.amdhsa_exception_fp_ieee_inexact 0
		.amdhsa_exception_int_div_zero 0
	.end_amdhsa_kernel
	.text
.Lfunc_end0:
	.size	fft_rtc_back_len99_factors_3_3_11_wgs_220_tpt_11_sp_ip_CI_unitstride_sbrr_dirReg, .Lfunc_end0-fft_rtc_back_len99_factors_3_3_11_wgs_220_tpt_11_sp_ip_CI_unitstride_sbrr_dirReg
                                        ; -- End function
	.section	.AMDGPU.csdata,"",@progbits
; Kernel info:
; codeLenInByte = 4776
; NumSgprs: 23
; NumVgprs: 121
; ScratchSize: 0
; MemoryBound: 0
; FloatMode: 240
; IeeeMode: 1
; LDSByteSize: 0 bytes/workgroup (compile time only)
; SGPRBlocks: 2
; VGPRBlocks: 15
; NumSGPRsForWavesPerEU: 23
; NumVGPRsForWavesPerEU: 121
; Occupancy: 8
; WaveLimiterHint : 1
; COMPUTE_PGM_RSRC2:SCRATCH_EN: 0
; COMPUTE_PGM_RSRC2:USER_SGPR: 6
; COMPUTE_PGM_RSRC2:TRAP_HANDLER: 0
; COMPUTE_PGM_RSRC2:TGID_X_EN: 1
; COMPUTE_PGM_RSRC2:TGID_Y_EN: 0
; COMPUTE_PGM_RSRC2:TGID_Z_EN: 0
; COMPUTE_PGM_RSRC2:TIDIG_COMP_CNT: 0
	.text
	.p2alignl 6, 3214868480
	.fill 48, 4, 3214868480
	.type	__hip_cuid_10ee6690d019d9b5,@object ; @__hip_cuid_10ee6690d019d9b5
	.section	.bss,"aw",@nobits
	.globl	__hip_cuid_10ee6690d019d9b5
__hip_cuid_10ee6690d019d9b5:
	.byte	0                               ; 0x0
	.size	__hip_cuid_10ee6690d019d9b5, 1

	.ident	"AMD clang version 19.0.0git (https://github.com/RadeonOpenCompute/llvm-project roc-6.4.0 25133 c7fe45cf4b819c5991fe208aaa96edf142730f1d)"
	.section	".note.GNU-stack","",@progbits
	.addrsig
	.addrsig_sym __hip_cuid_10ee6690d019d9b5
	.amdgpu_metadata
---
amdhsa.kernels:
  - .args:
      - .actual_access:  read_only
        .address_space:  global
        .offset:         0
        .size:           8
        .value_kind:     global_buffer
      - .offset:         8
        .size:           8
        .value_kind:     by_value
      - .actual_access:  read_only
        .address_space:  global
        .offset:         16
        .size:           8
        .value_kind:     global_buffer
      - .actual_access:  read_only
        .address_space:  global
        .offset:         24
        .size:           8
        .value_kind:     global_buffer
      - .offset:         32
        .size:           8
        .value_kind:     by_value
      - .actual_access:  read_only
        .address_space:  global
        .offset:         40
        .size:           8
        .value_kind:     global_buffer
      - .actual_access:  read_only
        .address_space:  global
        .offset:         48
        .size:           8
        .value_kind:     global_buffer
      - .offset:         56
        .size:           4
        .value_kind:     by_value
      - .actual_access:  read_only
        .address_space:  global
        .offset:         64
        .size:           8
        .value_kind:     global_buffer
      - .actual_access:  read_only
        .address_space:  global
        .offset:         72
        .size:           8
        .value_kind:     global_buffer
      - .address_space:  global
        .offset:         80
        .size:           8
        .value_kind:     global_buffer
    .group_segment_fixed_size: 0
    .kernarg_segment_align: 8
    .kernarg_segment_size: 88
    .language:       OpenCL C
    .language_version:
      - 2
      - 0
    .max_flat_workgroup_size: 220
    .name:           fft_rtc_back_len99_factors_3_3_11_wgs_220_tpt_11_sp_ip_CI_unitstride_sbrr_dirReg
    .private_segment_fixed_size: 0
    .sgpr_count:     23
    .sgpr_spill_count: 0
    .symbol:         fft_rtc_back_len99_factors_3_3_11_wgs_220_tpt_11_sp_ip_CI_unitstride_sbrr_dirReg.kd
    .uniform_work_group_size: 1
    .uses_dynamic_stack: false
    .vgpr_count:     121
    .vgpr_spill_count: 0
    .wavefront_size: 32
    .workgroup_processor_mode: 1
amdhsa.target:   amdgcn-amd-amdhsa--gfx1030
amdhsa.version:
  - 1
  - 2
...

	.end_amdgpu_metadata
